;; amdgpu-corpus repo=ROCm/rocFFT kind=compiled arch=gfx1201 opt=O3
	.text
	.amdgcn_target "amdgcn-amd-amdhsa--gfx1201"
	.amdhsa_code_object_version 6
	.protected	fft_rtc_back_len240_factors_4_5_3_4_wgs_240_tpt_20_dim3_sp_ip_CI_sbcc_twdbase8_2step_dirReg_intrinsicReadWrite ; -- Begin function fft_rtc_back_len240_factors_4_5_3_4_wgs_240_tpt_20_dim3_sp_ip_CI_sbcc_twdbase8_2step_dirReg_intrinsicReadWrite
	.globl	fft_rtc_back_len240_factors_4_5_3_4_wgs_240_tpt_20_dim3_sp_ip_CI_sbcc_twdbase8_2step_dirReg_intrinsicReadWrite
	.p2align	8
	.type	fft_rtc_back_len240_factors_4_5_3_4_wgs_240_tpt_20_dim3_sp_ip_CI_sbcc_twdbase8_2step_dirReg_intrinsicReadWrite,@function
fft_rtc_back_len240_factors_4_5_3_4_wgs_240_tpt_20_dim3_sp_ip_CI_sbcc_twdbase8_2step_dirReg_intrinsicReadWrite: ; @fft_rtc_back_len240_factors_4_5_3_4_wgs_240_tpt_20_dim3_sp_ip_CI_sbcc_twdbase8_2step_dirReg_intrinsicReadWrite
; %bb.0:
	s_load_b128 s[4:7], s[0:1], 0x10
	s_mov_b32 s11, 0
	s_mov_b32 s2, 0x55540000
	s_movk_i32 s3, 0x55
	s_mov_b32 s10, s11
	s_delay_alu instid0(SALU_CYCLE_1) | instskip(NEXT) | instid1(SALU_CYCLE_1)
	s_add_nc_u64 s[2:3], s[10:11], s[2:3]
	s_add_co_i32 s3, s3, 0x15555500
	s_delay_alu instid0(SALU_CYCLE_1) | instskip(NEXT) | instid1(SALU_CYCLE_1)
	s_mul_u64 s[12:13], s[2:3], -12
	s_mul_hi_u32 s15, s2, s13
	s_mul_i32 s14, s2, s13
	s_mul_hi_u32 s10, s2, s12
	s_mul_i32 s17, s3, s12
	s_add_nc_u64 s[14:15], s[10:11], s[14:15]
	s_mul_hi_u32 s16, s3, s12
	s_mul_hi_u32 s18, s3, s13
	s_add_co_u32 s10, s14, s17
	s_wait_kmcnt 0x0
	s_load_b64 s[8:9], s[4:5], 0x8
	s_add_co_ci_u32 s10, s15, s16
	s_mul_i32 s12, s3, s13
	s_add_co_ci_u32 s13, s18, 0
	s_delay_alu instid0(SALU_CYCLE_1) | instskip(NEXT) | instid1(SALU_CYCLE_1)
	s_add_nc_u64 s[12:13], s[10:11], s[12:13]
	v_add_co_u32 v1, s2, s2, s12
	s_delay_alu instid0(VALU_DEP_1) | instskip(SKIP_1) | instid1(VALU_DEP_1)
	s_cmp_lg_u32 s2, 0
	s_add_co_ci_u32 s14, s3, s13
	v_readfirstlane_b32 s15, v1
	s_wait_kmcnt 0x0
	s_add_nc_u64 s[2:3], s[8:9], -1
	s_wait_alu 0xfffe
	s_mul_hi_u32 s13, s2, s14
	s_mul_i32 s12, s2, s14
	s_mul_hi_u32 s10, s2, s15
	s_mul_hi_u32 s17, s3, s15
	s_mul_i32 s15, s3, s15
	s_wait_alu 0xfffe
	s_add_nc_u64 s[12:13], s[10:11], s[12:13]
	s_mul_hi_u32 s16, s3, s14
	s_wait_alu 0xfffe
	s_add_co_u32 s10, s12, s15
	s_add_co_ci_u32 s10, s13, s17
	s_mul_i32 s14, s3, s14
	s_add_co_ci_u32 s15, s16, 0
	s_delay_alu instid0(SALU_CYCLE_1) | instskip(SKIP_2) | instid1(SALU_CYCLE_1)
	s_add_nc_u64 s[12:13], s[10:11], s[14:15]
	s_wait_alu 0xfffe
	s_mul_u64 s[14:15], s[12:13], 12
	v_sub_co_u32 v1, s2, s2, s14
	s_delay_alu instid0(VALU_DEP_1) | instskip(SKIP_1) | instid1(VALU_DEP_1)
	s_cmp_lg_u32 s2, 0
	s_sub_co_ci_u32 s16, s3, s15
	v_sub_co_u32 v2, s10, v1, 12
	s_delay_alu instid0(VALU_DEP_1) | instskip(SKIP_2) | instid1(VALU_DEP_1)
	s_cmp_lg_u32 s10, 0
	s_add_nc_u64 s[14:15], s[12:13], 2
	s_sub_co_ci_u32 s10, s16, 0
	v_readfirstlane_b32 s2, v2
	s_delay_alu instid0(VALU_DEP_1)
	s_cmp_gt_u32 s2, 11
	s_add_nc_u64 s[2:3], s[12:13], 1
	s_cselect_b32 s17, -1, 0
	s_cmp_eq_u32 s10, 0
	s_cselect_b32 s10, s17, -1
	v_readfirstlane_b32 s17, v1
	s_cmp_lg_u32 s10, 0
	s_wait_alu 0xfffe
	s_cselect_b32 s2, s14, s2
	s_cselect_b32 s3, s15, s3
	s_cmp_gt_u32 s17, 11
	s_cselect_b32 s10, -1, 0
	s_cmp_eq_u32 s16, 0
	s_mov_b64 s[16:17], 0
	s_cselect_b32 s10, s10, -1
	s_delay_alu instid0(SALU_CYCLE_1)
	s_cmp_lg_u32 s10, 0
	s_mov_b32 s10, ttmp9
	s_wait_alu 0xfffe
	s_cselect_b32 s3, s3, s13
	s_cselect_b32 s2, s2, s12
	s_wait_alu 0xfffe
	s_add_nc_u64 s[12:13], s[2:3], 1
	s_wait_alu 0xfffe
	v_cmp_lt_u64_e64 s2, s[10:11], s[12:13]
	s_delay_alu instid0(VALU_DEP_1)
	s_and_b32 vcc_lo, exec_lo, s2
	s_cbranch_vccnz .LBB0_2
; %bb.1:
	v_cvt_f32_u32_e32 v1, s12
	s_sub_co_i32 s3, 0, s12
	s_mov_b32 s17, s11
	s_delay_alu instid0(VALU_DEP_1) | instskip(NEXT) | instid1(TRANS32_DEP_1)
	v_rcp_iflag_f32_e32 v1, v1
	v_mul_f32_e32 v1, 0x4f7ffffe, v1
	s_delay_alu instid0(VALU_DEP_1) | instskip(NEXT) | instid1(VALU_DEP_1)
	v_cvt_u32_f32_e32 v1, v1
	v_readfirstlane_b32 s2, v1
	s_wait_alu 0xfffe
	s_delay_alu instid0(VALU_DEP_1)
	s_mul_i32 s3, s3, s2
	s_wait_alu 0xfffe
	s_mul_hi_u32 s3, s2, s3
	s_wait_alu 0xfffe
	s_add_co_i32 s2, s2, s3
	s_wait_alu 0xfffe
	s_mul_hi_u32 s2, s10, s2
	s_wait_alu 0xfffe
	s_mul_i32 s3, s2, s12
	s_add_co_i32 s14, s2, 1
	s_wait_alu 0xfffe
	s_sub_co_i32 s3, s10, s3
	s_wait_alu 0xfffe
	s_sub_co_i32 s15, s3, s12
	s_cmp_ge_u32 s3, s12
	s_cselect_b32 s2, s14, s2
	s_wait_alu 0xfffe
	s_cselect_b32 s3, s15, s3
	s_add_co_i32 s14, s2, 1
	s_wait_alu 0xfffe
	s_cmp_ge_u32 s3, s12
	s_cselect_b32 s16, s14, s2
.LBB0_2:
	s_load_b64 s[22:23], s[4:5], 0x10
	s_load_b64 s[14:15], s[6:7], 0x8
	s_mov_b64 s[18:19], s[16:17]
	s_wait_kmcnt 0x0
	v_cmp_lt_u64_e64 s2, s[16:17], s[22:23]
	s_delay_alu instid0(VALU_DEP_1)
	s_and_b32 vcc_lo, exec_lo, s2
	s_cbranch_vccnz .LBB0_4
; %bb.3:
	v_cvt_f32_u32_e32 v1, s22
	s_sub_co_i32 s3, 0, s22
	s_mov_b32 s19, 0
	s_delay_alu instid0(VALU_DEP_1) | instskip(NEXT) | instid1(TRANS32_DEP_1)
	v_rcp_iflag_f32_e32 v1, v1
	v_mul_f32_e32 v1, 0x4f7ffffe, v1
	s_delay_alu instid0(VALU_DEP_1) | instskip(NEXT) | instid1(VALU_DEP_1)
	v_cvt_u32_f32_e32 v1, v1
	v_readfirstlane_b32 s2, v1
	s_wait_alu 0xfffe
	s_delay_alu instid0(VALU_DEP_1)
	s_mul_i32 s3, s3, s2
	s_wait_alu 0xfffe
	s_mul_hi_u32 s3, s2, s3
	s_wait_alu 0xfffe
	s_add_co_i32 s2, s2, s3
	s_wait_alu 0xfffe
	s_mul_hi_u32 s2, s16, s2
	s_wait_alu 0xfffe
	s_mul_i32 s2, s2, s22
	s_wait_alu 0xfffe
	s_sub_co_i32 s2, s16, s2
	s_wait_alu 0xfffe
	s_sub_co_i32 s3, s2, s22
	s_cmp_ge_u32 s2, s22
	s_wait_alu 0xfffe
	s_cselect_b32 s2, s3, s2
	s_wait_alu 0xfffe
	s_sub_co_i32 s3, s2, s22
	s_cmp_ge_u32 s2, s22
	s_wait_alu 0xfffe
	s_cselect_b32 s18, s3, s2
.LBB0_4:
	s_load_b64 s[2:3], s[0:1], 0x50
	s_clause 0x1
	s_load_b64 s[4:5], s[6:7], 0x0
	s_load_b64 s[20:21], s[6:7], 0x10
	s_mul_u64 s[24:25], s[22:23], s[12:13]
	s_mov_b64 s[22:23], 0
	s_wait_kmcnt 0x0
	v_cmp_lt_u64_e64 s5, s[10:11], s[24:25]
	s_delay_alu instid0(VALU_DEP_1)
	s_and_b32 vcc_lo, exec_lo, s5
	s_cbranch_vccnz .LBB0_6
; %bb.5:
	v_cvt_f32_u32_e32 v1, s24
	s_sub_co_i32 s22, 0, s24
	s_delay_alu instid0(VALU_DEP_1) | instskip(NEXT) | instid1(TRANS32_DEP_1)
	v_rcp_iflag_f32_e32 v1, v1
	v_mul_f32_e32 v1, 0x4f7ffffe, v1
	s_delay_alu instid0(VALU_DEP_1) | instskip(NEXT) | instid1(VALU_DEP_1)
	v_cvt_u32_f32_e32 v1, v1
	v_readfirstlane_b32 s5, v1
	s_wait_alu 0xfffe
	s_delay_alu instid0(VALU_DEP_1) | instskip(SKIP_4) | instid1(SALU_CYCLE_1)
	s_mul_i32 s22, s22, s5
	s_wait_alu 0xfffe
	s_mul_hi_u32 s22, s5, s22
	s_wait_alu 0xfffe
	s_add_co_i32 s5, s5, s22
	s_mul_hi_u32 s5, s10, s5
	s_delay_alu instid0(SALU_CYCLE_1)
	s_mul_i32 s22, s5, s24
	s_add_co_i32 s23, s5, 1
	s_wait_alu 0xfffe
	s_sub_co_i32 s22, s10, s22
	s_wait_alu 0xfffe
	s_sub_co_i32 s25, s22, s24
	s_cmp_ge_u32 s22, s24
	s_cselect_b32 s5, s23, s5
	s_wait_alu 0xfffe
	s_cselect_b32 s22, s25, s22
	s_add_co_i32 s25, s5, 1
	s_wait_alu 0xfffe
	s_cmp_ge_u32 s22, s24
	s_mov_b32 s23, 0
	s_cselect_b32 s22, s25, s5
.LBB0_6:
	v_mul_u32_u24_e32 v1, 0x1556, v0
	s_load_b64 s[6:7], s[6:7], 0x18
	s_mul_u64 s[12:13], s[16:17], s[12:13]
	v_mov_b32_e32 v3, 0
	s_wait_alu 0xfffe
	s_sub_nc_u64 s[10:11], s[10:11], s[12:13]
	v_lshrrev_b32_e32 v43, 16, v1
	s_wait_alu 0xfffe
	s_mul_u64 s[10:11], s[10:11], 12
	s_mul_u64 s[12:13], s[20:21], s[18:19]
	s_wait_alu 0xfffe
	s_add_nc_u64 s[18:19], s[10:11], 12
	s_mul_u64 s[16:17], s[14:15], s[10:11]
	v_mul_lo_u16 v1, v43, 12
	s_wait_alu 0xfffe
	s_add_nc_u64 s[12:13], s[12:13], s[16:17]
	v_mov_b32_e32 v4, 0
	s_delay_alu instid0(VALU_DEP_2) | instskip(NEXT) | instid1(VALU_DEP_1)
	v_sub_nc_u16 v1, v0, v1
	v_and_b32_e32 v25, 0xffff, v1
	s_wait_kmcnt 0x0
	s_mul_u64 s[6:7], s[6:7], s[22:23]
	s_wait_alu 0xfffe
	s_add_nc_u64 s[6:7], s[6:7], s[12:13]
	v_mad_co_u64_u32 v[33:34], null, s14, v25, 0
	s_delay_alu instid0(VALU_DEP_1) | instskip(NEXT) | instid1(VALU_DEP_1)
	v_mov_b32_e32 v1, v34
	v_mad_co_u64_u32 v[1:2], null, s15, v25, v[1:2]
	v_mov_b32_e32 v2, 0
	v_add_co_u32 v34, s5, s10, v25
	s_delay_alu instid0(VALU_DEP_1) | instskip(SKIP_1) | instid1(VALU_DEP_2)
	v_add_co_ci_u32_e64 v35, null, s11, 0, s5
	v_cmp_le_u64_e64 s5, s[18:19], s[8:9]
	v_cmp_gt_u64_e32 vcc_lo, s[8:9], v[34:35]
	s_delay_alu instid0(VALU_DEP_2)
	s_or_b32 s5, s5, vcc_lo
	s_wait_alu 0xfffe
	s_and_saveexec_b32 s7, s5
	s_cbranch_execz .LBB0_8
; %bb.7:
	v_mul_lo_u32 v1, s4, v43
	v_mov_b32_e32 v4, 0
	s_delay_alu instid0(VALU_DEP_2) | instskip(NEXT) | instid1(VALU_DEP_1)
	v_add3_u32 v3, s6, v33, v1
	v_lshlrev_b64_e32 v[3:4], 3, v[3:4]
	s_delay_alu instid0(VALU_DEP_1) | instskip(NEXT) | instid1(VALU_DEP_2)
	v_add_co_u32 v3, vcc_lo, s2, v3
	v_add_co_ci_u32_e32 v4, vcc_lo, s3, v4, vcc_lo
	global_load_b64 v[3:4], v[3:4], off
.LBB0_8:
	s_or_b32 exec_lo, exec_lo, s7
	v_dual_mov_b32 v1, 0 :: v_dual_add_nc_u32 v46, 60, v43
	s_and_saveexec_b32 s7, s5
	s_cbranch_execz .LBB0_10
; %bb.9:
	s_delay_alu instid0(VALU_DEP_1) | instskip(SKIP_1) | instid1(VALU_DEP_2)
	v_mul_lo_u32 v1, s4, v46
	v_mov_b32_e32 v2, 0
	v_add3_u32 v1, s6, v33, v1
	s_delay_alu instid0(VALU_DEP_1) | instskip(NEXT) | instid1(VALU_DEP_1)
	v_lshlrev_b64_e32 v[1:2], 3, v[1:2]
	v_add_co_u32 v1, vcc_lo, s2, v1
	s_wait_alu 0xfffd
	s_delay_alu instid0(VALU_DEP_2)
	v_add_co_ci_u32_e32 v2, vcc_lo, s3, v2, vcc_lo
	global_load_b64 v[1:2], v[1:2], off
.LBB0_10:
	s_wait_alu 0xfffe
	s_or_b32 exec_lo, exec_lo, s7
	v_dual_mov_b32 v6, 0 :: v_dual_mov_b32 v7, 0
	v_mov_b32_e32 v8, 0
	s_and_saveexec_b32 s7, s5
	s_cbranch_execz .LBB0_12
; %bb.11:
	v_dual_mov_b32 v8, 0 :: v_dual_add_nc_u32 v5, 0x78, v43
	s_delay_alu instid0(VALU_DEP_1) | instskip(NEXT) | instid1(VALU_DEP_1)
	v_mul_lo_u32 v5, s4, v5
	v_add3_u32 v7, s6, v33, v5
	s_delay_alu instid0(VALU_DEP_1) | instskip(NEXT) | instid1(VALU_DEP_1)
	v_lshlrev_b64_e32 v[7:8], 3, v[7:8]
	v_add_co_u32 v7, vcc_lo, s2, v7
	s_wait_alu 0xfffd
	s_delay_alu instid0(VALU_DEP_2)
	v_add_co_ci_u32_e32 v8, vcc_lo, s3, v8, vcc_lo
	global_load_b64 v[7:8], v[7:8], off
.LBB0_12:
	s_wait_alu 0xfffe
	s_or_b32 exec_lo, exec_lo, s7
	v_mov_b32_e32 v5, 0
	s_and_saveexec_b32 s7, s5
	s_cbranch_execz .LBB0_14
; %bb.13:
	v_dual_mov_b32 v6, 0 :: v_dual_add_nc_u32 v5, 0xb4, v43
	s_delay_alu instid0(VALU_DEP_1) | instskip(NEXT) | instid1(VALU_DEP_1)
	v_mul_lo_u32 v5, s4, v5
	v_add3_u32 v5, s6, v33, v5
	s_delay_alu instid0(VALU_DEP_1) | instskip(NEXT) | instid1(VALU_DEP_1)
	v_lshlrev_b64_e32 v[5:6], 3, v[5:6]
	v_add_co_u32 v5, vcc_lo, s2, v5
	s_wait_alu 0xfffd
	s_delay_alu instid0(VALU_DEP_2)
	v_add_co_ci_u32_e32 v6, vcc_lo, s3, v6, vcc_lo
	global_load_b64 v[5:6], v[5:6], off
.LBB0_14:
	s_wait_alu 0xfffe
	s_or_b32 exec_lo, exec_lo, s7
	v_dual_mov_b32 v11, 0 :: v_dual_add_nc_u32 v42, 20, v43
	v_mov_b32_e32 v10, 0
	v_mov_b32_e32 v12, 0
	s_and_saveexec_b32 s7, s5
	s_cbranch_execz .LBB0_16
; %bb.15:
	v_mul_lo_u32 v9, s4, v42
	v_mov_b32_e32 v12, 0
	s_delay_alu instid0(VALU_DEP_2) | instskip(NEXT) | instid1(VALU_DEP_1)
	v_add3_u32 v11, s6, v33, v9
	v_lshlrev_b64_e32 v[11:12], 3, v[11:12]
	s_delay_alu instid0(VALU_DEP_1) | instskip(SKIP_1) | instid1(VALU_DEP_2)
	v_add_co_u32 v11, vcc_lo, s2, v11
	s_wait_alu 0xfffd
	v_add_co_ci_u32_e32 v12, vcc_lo, s3, v12, vcc_lo
	global_load_b64 v[11:12], v[11:12], off
.LBB0_16:
	s_wait_alu 0xfffe
	s_or_b32 exec_lo, exec_lo, s7
	v_mov_b32_e32 v9, 0
	s_and_saveexec_b32 s7, s5
	s_cbranch_execz .LBB0_18
; %bb.17:
	v_dual_mov_b32 v10, 0 :: v_dual_add_nc_u32 v9, 0x50, v43
	s_delay_alu instid0(VALU_DEP_1) | instskip(NEXT) | instid1(VALU_DEP_1)
	v_mul_lo_u32 v9, s4, v9
	v_add3_u32 v9, s6, v33, v9
	s_delay_alu instid0(VALU_DEP_1) | instskip(NEXT) | instid1(VALU_DEP_1)
	v_lshlrev_b64_e32 v[9:10], 3, v[9:10]
	v_add_co_u32 v9, vcc_lo, s2, v9
	s_wait_alu 0xfffd
	s_delay_alu instid0(VALU_DEP_2)
	v_add_co_ci_u32_e32 v10, vcc_lo, s3, v10, vcc_lo
	global_load_b64 v[9:10], v[9:10], off
.LBB0_18:
	s_wait_alu 0xfffe
	s_or_b32 exec_lo, exec_lo, s7
	v_dual_mov_b32 v14, 0 :: v_dual_mov_b32 v15, 0
	v_mov_b32_e32 v16, 0
	s_and_saveexec_b32 s7, s5
	s_cbranch_execz .LBB0_20
; %bb.19:
	v_dual_mov_b32 v16, 0 :: v_dual_add_nc_u32 v13, 0x8c, v43
	s_delay_alu instid0(VALU_DEP_1) | instskip(NEXT) | instid1(VALU_DEP_1)
	v_mul_lo_u32 v13, s4, v13
	v_add3_u32 v15, s6, v33, v13
	s_delay_alu instid0(VALU_DEP_1) | instskip(NEXT) | instid1(VALU_DEP_1)
	v_lshlrev_b64_e32 v[15:16], 3, v[15:16]
	v_add_co_u32 v15, vcc_lo, s2, v15
	s_wait_alu 0xfffd
	s_delay_alu instid0(VALU_DEP_2)
	v_add_co_ci_u32_e32 v16, vcc_lo, s3, v16, vcc_lo
	global_load_b64 v[15:16], v[15:16], off
.LBB0_20:
	s_wait_alu 0xfffe
	s_or_b32 exec_lo, exec_lo, s7
	v_mov_b32_e32 v13, 0
	s_and_saveexec_b32 s7, s5
	s_cbranch_execz .LBB0_22
; %bb.21:
	v_dual_mov_b32 v14, 0 :: v_dual_add_nc_u32 v13, 0xc8, v43
	s_delay_alu instid0(VALU_DEP_1) | instskip(NEXT) | instid1(VALU_DEP_1)
	v_mul_lo_u32 v13, s4, v13
	v_add3_u32 v13, s6, v33, v13
	s_delay_alu instid0(VALU_DEP_1) | instskip(NEXT) | instid1(VALU_DEP_1)
	v_lshlrev_b64_e32 v[13:14], 3, v[13:14]
	v_add_co_u32 v13, vcc_lo, s2, v13
	s_wait_alu 0xfffd
	s_delay_alu instid0(VALU_DEP_2)
	v_add_co_ci_u32_e32 v14, vcc_lo, s3, v14, vcc_lo
	global_load_b64 v[13:14], v[13:14], off
.LBB0_22:
	s_wait_alu 0xfffe
	s_or_b32 exec_lo, exec_lo, s7
	v_dual_mov_b32 v18, 0 :: v_dual_add_nc_u32 v41, 40, v43
	v_dual_mov_b32 v20, 0 :: v_dual_mov_b32 v19, 0
	s_and_saveexec_b32 s7, s5
	s_cbranch_execz .LBB0_24
; %bb.23:
	s_delay_alu instid0(VALU_DEP_2) | instskip(SKIP_1) | instid1(VALU_DEP_2)
	v_mul_lo_u32 v17, s4, v41
	v_mov_b32_e32 v20, 0
	v_add3_u32 v19, s6, v33, v17
	s_delay_alu instid0(VALU_DEP_1) | instskip(NEXT) | instid1(VALU_DEP_1)
	v_lshlrev_b64_e32 v[19:20], 3, v[19:20]
	v_add_co_u32 v19, vcc_lo, s2, v19
	s_wait_alu 0xfffd
	s_delay_alu instid0(VALU_DEP_2)
	v_add_co_ci_u32_e32 v20, vcc_lo, s3, v20, vcc_lo
	global_load_b64 v[19:20], v[19:20], off
.LBB0_24:
	s_wait_alu 0xfffe
	s_or_b32 exec_lo, exec_lo, s7
	v_mov_b32_e32 v17, 0
	s_and_saveexec_b32 s7, s5
	s_cbranch_execz .LBB0_26
; %bb.25:
	v_dual_mov_b32 v18, 0 :: v_dual_add_nc_u32 v17, 0x64, v43
	s_delay_alu instid0(VALU_DEP_1) | instskip(NEXT) | instid1(VALU_DEP_1)
	v_mul_lo_u32 v17, s4, v17
	v_add3_u32 v17, s6, v33, v17
	s_delay_alu instid0(VALU_DEP_1) | instskip(NEXT) | instid1(VALU_DEP_1)
	v_lshlrev_b64_e32 v[17:18], 3, v[17:18]
	v_add_co_u32 v17, vcc_lo, s2, v17
	s_wait_alu 0xfffd
	s_delay_alu instid0(VALU_DEP_2)
	v_add_co_ci_u32_e32 v18, vcc_lo, s3, v18, vcc_lo
	global_load_b64 v[17:18], v[17:18], off
.LBB0_26:
	s_wait_alu 0xfffe
	s_or_b32 exec_lo, exec_lo, s7
	v_dual_mov_b32 v22, 0 :: v_dual_mov_b32 v23, 0
	v_mov_b32_e32 v24, 0
	s_and_saveexec_b32 s7, s5
	s_cbranch_execz .LBB0_28
; %bb.27:
	v_or_b32_e32 v21, 0xa0, v43
	v_mov_b32_e32 v24, 0
	s_delay_alu instid0(VALU_DEP_2) | instskip(NEXT) | instid1(VALU_DEP_1)
	v_mul_lo_u32 v21, s4, v21
	v_add3_u32 v23, s6, v33, v21
	s_delay_alu instid0(VALU_DEP_1) | instskip(NEXT) | instid1(VALU_DEP_1)
	v_lshlrev_b64_e32 v[23:24], 3, v[23:24]
	v_add_co_u32 v23, vcc_lo, s2, v23
	s_wait_alu 0xfffd
	s_delay_alu instid0(VALU_DEP_2)
	v_add_co_ci_u32_e32 v24, vcc_lo, s3, v24, vcc_lo
	global_load_b64 v[23:24], v[23:24], off
.LBB0_28:
	s_wait_alu 0xfffe
	s_or_b32 exec_lo, exec_lo, s7
	s_load_b64 s[8:9], s[0:1], 0x0
	v_mov_b32_e32 v21, 0
	s_and_saveexec_b32 s7, s5
	s_cbranch_execz .LBB0_30
; %bb.29:
	v_dual_mov_b32 v22, 0 :: v_dual_add_nc_u32 v21, 0xdc, v43
	s_delay_alu instid0(VALU_DEP_1) | instskip(NEXT) | instid1(VALU_DEP_1)
	v_mul_lo_u32 v21, s4, v21
	v_add3_u32 v21, s6, v33, v21
	s_delay_alu instid0(VALU_DEP_1) | instskip(NEXT) | instid1(VALU_DEP_1)
	v_lshlrev_b64_e32 v[21:22], 3, v[21:22]
	v_add_co_u32 v21, vcc_lo, s2, v21
	s_wait_alu 0xfffd
	s_delay_alu instid0(VALU_DEP_2)
	v_add_co_ci_u32_e32 v22, vcc_lo, s3, v22, vcc_lo
	global_load_b64 v[21:22], v[21:22], off
.LBB0_30:
	s_wait_alu 0xfffe
	s_or_b32 exec_lo, exec_lo, s7
	s_wait_loadcnt 0x0
	v_dual_sub_f32 v26, v3, v7 :: v_dual_sub_f32 v7, v1, v5
	v_dual_sub_f32 v27, v4, v8 :: v_dual_sub_f32 v8, v2, v6
	v_dual_sub_f32 v28, v11, v15 :: v_dual_sub_f32 v29, v12, v16
	s_delay_alu instid0(VALU_DEP_3) | instskip(NEXT) | instid1(VALU_DEP_4)
	v_fma_f32 v3, v3, 2.0, -v26
	v_fma_f32 v1, v1, 2.0, -v7
	v_sub_f32_e32 v16, v10, v14
	v_fma_f32 v15, v4, 2.0, -v27
	v_fma_f32 v2, v2, 2.0, -v8
	v_fma_f32 v30, v12, 2.0, -v29
	v_add_f32_e32 v8, v26, v8
	v_fma_f32 v12, v10, 2.0, -v16
	v_sub_f32_e32 v4, v3, v1
	v_sub_f32_e32 v1, v9, v13
	;; [unrolled: 1-line block ×3, first 2 shown]
	v_fma_f32 v2, v11, 2.0, -v28
	v_cmp_gt_u32_e32 vcc_lo, 0x60, v0
	s_delay_alu instid0(VALU_DEP_4) | instskip(SKIP_2) | instid1(VALU_DEP_3)
	v_fma_f32 v11, v9, 2.0, -v1
	v_sub_f32_e32 v9, v27, v7
	v_sub_f32_e32 v23, v19, v23
	;; [unrolled: 1-line block ×4, first 2 shown]
	v_fma_f32 v6, v3, 2.0, -v4
	v_fma_f32 v12, v26, 2.0, -v8
	v_add_f32_e32 v26, v28, v16
	v_fma_f32 v14, v2, 2.0, -v10
	v_dual_sub_f32 v2, v17, v21 :: v_dual_sub_f32 v21, v20, v24
	v_lshlrev_b32_e32 v47, 3, v25
	v_fma_f32 v13, v27, 2.0, -v9
	v_fma_f32 v7, v15, 2.0, -v5
	s_delay_alu instid0(VALU_DEP_4)
	v_fma_f32 v17, v17, 2.0, -v2
	v_sub_f32_e32 v2, v21, v2
	v_sub_f32_e32 v3, v18, v22
	v_fma_f32 v20, v20, 2.0, -v21
	v_fma_f32 v15, v30, 2.0, -v11
	;; [unrolled: 1-line block ×5, first 2 shown]
	v_sub_f32_e32 v27, v29, v1
	v_fma_f32 v1, v19, 2.0, -v23
	v_mul_u32_u24_e32 v19, 48, v43
	s_delay_alu instid0(VALU_DEP_2) | instskip(NEXT) | instid1(VALU_DEP_2)
	v_dual_sub_f32 v36, v20, v18 :: v_dual_sub_f32 v35, v1, v17
	v_lshl_add_u32 v19, v19, 3, 0
	v_fma_f32 v17, v29, 2.0, -v27
	s_delay_alu instid0(VALU_DEP_3) | instskip(NEXT) | instid1(VALU_DEP_3)
	v_fma_f32 v18, v1, 2.0, -v35
	v_add_nc_u32_e32 v22, v19, v47
	s_delay_alu instid0(VALU_DEP_1) | instskip(SKIP_3) | instid1(VALU_DEP_3)
	v_mad_i32_i24 v44, 0xfffffee0, v43, v22
	v_add_f32_e32 v1, v23, v3
	v_add_nc_u32_e32 v3, 0x3c00, v19
	v_fma_f32 v19, v20, 2.0, -v36
	v_fma_f32 v20, v23, 2.0, -v1
	v_add_nc_u32_e32 v23, 0x1800, v22
	s_delay_alu instid0(VALU_DEP_4)
	v_add_nc_u32_e32 v24, v3, v47
	ds_store_2addr_b64 v22, v[6:7], v[12:13] offset1:12
	ds_store_2addr_b64 v22, v[4:5], v[8:9] offset0:24 offset1:36
	ds_store_2addr_b64 v23, v[14:15], v[16:17] offset0:192 offset1:204
	;; [unrolled: 1-line block ×3, first 2 shown]
	ds_store_2addr_b64 v24, v[18:19], v[20:21] offset1:12
	ds_store_2addr_b64 v24, v[35:36], v[1:2] offset0:24 offset1:36
	v_add_nc_u32_e32 v6, 0x3600, v44
	v_mul_i32_i24_e32 v4, 0xfffffee0, v42
	v_add_nc_u32_e32 v5, 0x2400, v44
	v_add_nc_u32_e32 v7, 0x4800, v44
	global_wb scope:SCOPE_SE
	s_wait_dscnt 0x0
	s_wait_kmcnt 0x0
	s_barrier_signal -1
	v_add3_u32 v45, 0x1e00, v22, v4
	s_barrier_wait -1
	global_inv scope:SCOPE_SE
	ds_load_2addr_stride64_b64 v[17:20], v44 offset1:9
	ds_load_2addr_b64 v[29:32], v5 offset1:240
	ds_load_2addr_b64 v[25:28], v6 offset1:240
	;; [unrolled: 1-line block ×3, first 2 shown]
	ds_load_b64 v[37:38], v45
	ds_load_b64 v[39:40], v44 offset:6528
                                        ; implicit-def: $vgpr8
	s_and_saveexec_b32 s7, vcc_lo
	s_cbranch_execz .LBB0_32
; %bb.31:
	v_mul_i32_i24_e32 v1, 0xfffffee0, v41
	v_add_nc_u32_e32 v5, 0x100, v44
	s_delay_alu instid0(VALU_DEP_2)
	v_add3_u32 v6, v3, v1, v47
	ds_load_2addr_stride64_b64 v[1:4], v5 offset0:16 offset1:25
	ds_load_b64 v[35:36], v6
	ds_load_2addr_stride64_b64 v[5:8], v5 offset0:34 offset1:43
.LBB0_32:
	s_wait_alu 0xfffe
	s_or_b32 exec_lo, exec_lo, s7
	v_and_b32_e32 v48, 3, v43
	v_lshrrev_b32_e32 v49, 2, v43
	v_lshrrev_b32_e32 v50, 2, v42
	s_delay_alu instid0(VALU_DEP_3) | instskip(NEXT) | instid1(VALU_DEP_3)
	v_lshlrev_b32_e32 v9, 5, v48
	v_mul_u32_u24_e32 v49, 20, v49
	s_delay_alu instid0(VALU_DEP_3)
	v_mul_u32_u24_e32 v50, 20, v50
	s_clause 0x1
	global_load_b128 v[13:16], v9, s[8:9]
	global_load_b128 v[9:12], v9, s[8:9] offset:16
	global_wb scope:SCOPE_SE
	s_wait_loadcnt_dscnt 0x0
	s_barrier_signal -1
	s_barrier_wait -1
	global_inv scope:SCOPE_SE
	v_mul_f32_e32 v52, v14, v19
	v_dual_mul_f32 v51, v14, v20 :: v_dual_mul_f32 v58, v12, v21
	v_mul_f32_e32 v59, v14, v40
	v_dual_mul_f32 v53, v16, v30 :: v_dual_mul_f32 v56, v10, v25
	v_dual_mul_f32 v54, v16, v29 :: v_dual_mul_f32 v55, v10, v26
	s_delay_alu instid0(VALU_DEP_4)
	v_fmac_f32_e32 v51, v13, v19
	v_fma_f32 v19, v13, v20, -v52
	v_dual_mul_f32 v57, v12, v22 :: v_dual_mul_f32 v60, v14, v39
	v_dual_mul_f32 v62, v16, v31 :: v_dual_mul_f32 v63, v10, v28
	v_fma_f32 v52, v11, v22, -v58
	v_dual_mul_f32 v61, v16, v32 :: v_dual_mul_f32 v64, v10, v27
	v_dual_mul_f32 v66, v12, v23 :: v_dual_fmac_f32 v53, v15, v29
	v_fma_f32 v20, v15, v30, -v54
	v_dual_fmac_f32 v55, v9, v25 :: v_dual_add_f32 v54, v18, v19
	v_mul_f32_e32 v65, v12, v24
	v_fma_f32 v26, v9, v26, -v56
	v_fma_f32 v22, v15, v32, -v62
	v_sub_f32_e32 v32, v19, v52
	v_dual_fmac_f32 v57, v11, v21 :: v_dual_sub_f32 v30, v53, v51
	s_delay_alu instid0(VALU_DEP_4)
	v_dual_fmac_f32 v59, v13, v39 :: v_dual_add_f32 v56, v20, v26
	v_fma_f32 v21, v13, v40, -v60
	v_dual_fmac_f32 v61, v15, v31 :: v_dual_sub_f32 v62, v52, v26
	v_dual_fmac_f32 v63, v9, v27 :: v_dual_sub_f32 v60, v19, v20
	v_fma_f32 v28, v9, v28, -v64
	v_fma_f32 v40, v11, v24, -v66
	v_add_f32_e32 v24, v53, v55
	v_fmac_f32_e32 v65, v11, v23
	v_dual_add_f32 v23, v17, v51 :: v_dual_add_f32 v64, v19, v52
	v_dual_add_f32 v29, v51, v57 :: v_dual_add_f32 v68, v37, v59
	v_dual_sub_f32 v25, v51, v53 :: v_dual_sub_f32 v66, v20, v19
	v_dual_sub_f32 v27, v57, v55 :: v_dual_sub_f32 v72, v59, v61
	v_dual_sub_f32 v31, v55, v57 :: v_dual_add_f32 v78, v22, v28
	v_sub_f32_e32 v70, v21, v40
	v_dual_add_f32 v69, v61, v63 :: v_dual_sub_f32 v76, v63, v65
	v_dual_add_f32 v77, v38, v21 :: v_dual_add_f32 v82, v21, v40
	v_dual_sub_f32 v67, v26, v52 :: v_dual_add_f32 v74, v59, v65
	v_dual_sub_f32 v39, v20, v26 :: v_dual_sub_f32 v58, v53, v55
	v_dual_sub_f32 v51, v51, v57 :: v_dual_sub_f32 v80, v21, v22
	v_sub_f32_e32 v75, v61, v59
	v_fma_f32 v19, -0.5, v24, v17
	v_add_f32_e32 v24, v54, v20
	v_fma_f32 v20, -0.5, v56, v18
	v_add_f32_e32 v23, v23, v53
	v_dual_sub_f32 v73, v65, v63 :: v_dual_sub_f32 v84, v28, v40
	v_fma_f32 v17, -0.5, v29, v17
	v_fma_f32 v18, -0.5, v64, v18
	v_dual_sub_f32 v71, v22, v28 :: v_dual_add_f32 v54, v60, v62
	v_dual_sub_f32 v59, v59, v65 :: v_dual_add_f32 v56, v66, v67
	v_sub_f32_e32 v81, v40, v28
	v_sub_f32_e32 v83, v22, v21
	v_add_f32_e32 v85, v30, v31
	v_fma_f32 v21, -0.5, v69, v37
	v_add_f32_e32 v30, v77, v22
	v_dual_add_f32 v53, v25, v27 :: v_dual_add_f32 v62, v80, v81
	v_add_f32_e32 v27, v68, v61
	v_fma_f32 v22, -0.5, v78, v38
	v_dual_sub_f32 v79, v61, v63 :: v_dual_add_f32 v60, v72, v73
	v_fma_f32 v37, -0.5, v74, v37
	v_fmac_f32_e32 v38, -0.5, v82
	v_or_b32_e32 v49, v49, v48
	v_add_f32_e32 v31, v23, v55
	v_dual_fmamk_f32 v23, v32, 0xbf737871, v19 :: v_dual_add_f32 v66, v30, v28
	v_dual_add_f32 v55, v24, v26 :: v_dual_fmamk_f32 v24, v51, 0x3f737871, v20
	v_dual_add_f32 v61, v75, v76 :: v_dual_fmamk_f32 v26, v58, 0xbf737871, v18
	v_fmamk_f32 v25, v39, 0x3f737871, v17
	v_dual_fmac_f32 v17, 0xbf737871, v39 :: v_dual_fmamk_f32 v30, v79, 0xbf737871, v38
	v_dual_fmac_f32 v18, 0x3f737871, v58 :: v_dual_fmac_f32 v19, 0x3f737871, v32
	v_fmamk_f32 v28, v59, 0x3f737871, v22
	v_fmac_f32_e32 v20, 0xbf737871, v51
	v_or_b32_e32 v50, v50, v48
	v_dual_add_f32 v63, v27, v63 :: v_dual_fmac_f32 v24, 0x3f167918, v58
	v_dual_fmac_f32 v22, 0xbf737871, v59 :: v_dual_fmamk_f32 v27, v70, 0xbf737871, v21
	v_fmamk_f32 v29, v71, 0x3f737871, v37
	v_fmac_f32_e32 v37, 0xbf737871, v71
	v_fmac_f32_e32 v38, 0x3f737871, v79
	v_mul_u32_u24_e32 v49, 0x60, v49
	v_dual_fmac_f32 v21, 0x3f737871, v70 :: v_dual_add_f32 v40, v66, v40
	v_fmac_f32_e32 v23, 0xbf167918, v39
	v_dual_fmac_f32 v25, 0xbf167918, v32 :: v_dual_fmac_f32 v18, 0xbf167918, v51
	v_dual_fmac_f32 v17, 0x3f167918, v32 :: v_dual_fmac_f32 v26, 0x3f167918, v51
	v_dual_add_f32 v31, v31, v57 :: v_dual_fmac_f32 v20, 0xbf167918, v58
	v_fmac_f32_e32 v19, 0x3f167918, v39
	v_mul_u32_u24_e32 v50, 0x60, v50
	v_add_f32_e32 v32, v55, v52
	v_dual_add_f32 v39, v63, v65 :: v_dual_fmac_f32 v28, 0x3f167918, v79
	v_dual_fmac_f32 v27, 0xbf167918, v71 :: v_dual_add_f32 v64, v83, v84
	v_dual_fmac_f32 v29, 0xbf167918, v70 :: v_dual_fmac_f32 v22, 0xbf167918, v79
	v_dual_fmac_f32 v37, 0x3f167918, v70 :: v_dual_fmac_f32 v30, 0x3f167918, v59
	v_fmac_f32_e32 v38, 0xbf167918, v59
	v_add3_u32 v49, 0, v49, v47
	v_fmac_f32_e32 v21, 0x3f167918, v71
	v_dual_fmac_f32 v23, 0x3e9e377a, v53 :: v_dual_fmac_f32 v24, 0x3e9e377a, v54
	v_dual_fmac_f32 v25, 0x3e9e377a, v85 :: v_dual_fmac_f32 v26, 0x3e9e377a, v56
	;; [unrolled: 1-line block ×4, first 2 shown]
	v_add3_u32 v50, 0, v50, v47
	v_dual_fmac_f32 v27, 0x3e9e377a, v60 :: v_dual_fmac_f32 v28, 0x3e9e377a, v62
	v_dual_fmac_f32 v29, 0x3e9e377a, v61 :: v_dual_fmac_f32 v30, 0x3e9e377a, v64
	;; [unrolled: 1-line block ×4, first 2 shown]
	ds_store_2addr_b64 v49, v[31:32], v[23:24] offset1:48
	ds_store_2addr_b64 v49, v[25:26], v[17:18] offset0:96 offset1:144
	ds_store_b64 v49, v[19:20] offset:1536
	ds_store_2addr_b64 v50, v[39:40], v[27:28] offset1:48
	ds_store_2addr_b64 v50, v[29:30], v[37:38] offset0:96 offset1:144
	ds_store_b64 v50, v[21:22] offset:1536
	s_and_saveexec_b32 s7, vcc_lo
	s_cbranch_execz .LBB0_34
; %bb.33:
	v_dual_mul_f32 v17, v1, v14 :: v_dual_mul_f32 v18, v7, v12
	v_dual_mul_f32 v19, v5, v10 :: v_dual_mul_f32 v20, v3, v16
	s_delay_alu instid0(VALU_DEP_2) | instskip(SKIP_1) | instid1(VALU_DEP_3)
	v_fma_f32 v17, v2, v13, -v17
	v_mul_f32_e32 v14, v2, v14
	v_fma_f32 v20, v4, v15, -v20
	s_delay_alu instid0(VALU_DEP_2) | instskip(NEXT) | instid1(VALU_DEP_4)
	v_fmac_f32_e32 v14, v1, v13
	v_dual_add_f32 v1, v36, v17 :: v_dual_mul_f32 v10, v6, v10
	v_fma_f32 v13, v6, v9, -v19
	s_delay_alu instid0(VALU_DEP_2) | instskip(SKIP_1) | instid1(VALU_DEP_4)
	v_add_f32_e32 v1, v1, v20
	v_mul_f32_e32 v16, v4, v16
	v_fmac_f32_e32 v10, v5, v9
	v_sub_f32_e32 v9, v17, v20
	s_delay_alu instid0(VALU_DEP_3) | instskip(SKIP_2) | instid1(VALU_DEP_1)
	v_dual_add_f32 v1, v1, v13 :: v_dual_fmac_f32 v16, v3, v15
	v_sub_f32_e32 v3, v20, v17
	v_fma_f32 v15, v8, v11, -v18
	v_dual_mul_f32 v12, v8, v12 :: v_dual_sub_f32 v5, v13, v15
	s_delay_alu instid0(VALU_DEP_1) | instskip(SKIP_2) | instid1(VALU_DEP_4)
	v_dual_fmac_f32 v12, v7, v11 :: v_dual_sub_f32 v7, v16, v10
	v_add_f32_e32 v2, v35, v14
	v_dual_add_f32 v4, v17, v15 :: v_dual_sub_f32 v11, v15, v13
	v_add_f32_e32 v3, v3, v5
	s_delay_alu instid0(VALU_DEP_4) | instskip(NEXT) | instid1(VALU_DEP_4)
	v_sub_f32_e32 v5, v14, v12
	v_add_f32_e32 v2, v2, v16
	v_add_f32_e32 v8, v20, v13
	v_fma_f32 v4, -0.5, v4, v36
	s_delay_alu instid0(VALU_DEP_3) | instskip(SKIP_1) | instid1(VALU_DEP_4)
	v_add_f32_e32 v6, v2, v10
	v_add_f32_e32 v2, v1, v15
	v_dual_fmac_f32 v36, -0.5, v8 :: v_dual_sub_f32 v15, v17, v15
	s_delay_alu instid0(VALU_DEP_3) | instskip(SKIP_1) | instid1(VALU_DEP_3)
	v_dual_add_f32 v1, v6, v12 :: v_dual_fmamk_f32 v6, v7, 0x3f737871, v4
	v_fmac_f32_e32 v4, 0xbf737871, v7
	v_fmamk_f32 v8, v5, 0xbf737871, v36
	v_fmac_f32_e32 v36, 0x3f737871, v5
	s_delay_alu instid0(VALU_DEP_4) | instskip(NEXT) | instid1(VALU_DEP_4)
	v_fmac_f32_e32 v6, 0xbf167918, v5
	v_dual_fmac_f32 v4, 0x3f167918, v5 :: v_dual_add_f32 v5, v9, v11
	v_add_f32_e32 v9, v16, v10
	s_delay_alu instid0(VALU_DEP_3) | instskip(NEXT) | instid1(VALU_DEP_3)
	v_dual_sub_f32 v11, v20, v13 :: v_dual_fmac_f32 v6, 0x3e9e377a, v3
	v_dual_fmac_f32 v4, 0x3e9e377a, v3 :: v_dual_add_f32 v3, v14, v12
	v_lshrrev_b32_e32 v13, 2, v41
	v_fmac_f32_e32 v36, 0x3f167918, v7
	s_delay_alu instid0(VALU_DEP_3) | instskip(SKIP_4) | instid1(VALU_DEP_4)
	v_fma_f32 v3, -0.5, v3, v35
	v_dual_fmac_f32 v35, -0.5, v9 :: v_dual_fmac_f32 v8, 0xbf167918, v7
	v_sub_f32_e32 v7, v10, v12
	v_mul_u32_u24_e32 v9, 20, v13
	v_dual_sub_f32 v13, v14, v16 :: v_dual_sub_f32 v10, v12, v10
	v_fmac_f32_e32 v8, 0x3e9e377a, v5
	s_delay_alu instid0(VALU_DEP_3) | instskip(NEXT) | instid1(VALU_DEP_3)
	v_or_b32_e32 v9, v9, v48
	v_add_f32_e32 v10, v13, v10
	v_dual_fmac_f32 v36, 0x3e9e377a, v5 :: v_dual_sub_f32 v5, v16, v14
	s_delay_alu instid0(VALU_DEP_3) | instskip(NEXT) | instid1(VALU_DEP_2)
	v_mul_u32_u24_e32 v9, 0x60, v9
	v_dual_add_f32 v18, v5, v7 :: v_dual_fmamk_f32 v5, v11, 0xbf737871, v3
	v_fmamk_f32 v7, v15, 0x3f737871, v35
	v_fmac_f32_e32 v35, 0xbf737871, v15
	v_fmac_f32_e32 v3, 0x3f737871, v11
	v_add3_u32 v9, 0, v9, v47
	v_fmac_f32_e32 v5, 0x3f167918, v15
	v_fmac_f32_e32 v7, 0x3f167918, v11
	;; [unrolled: 1-line block ×4, first 2 shown]
	s_delay_alu instid0(VALU_DEP_4) | instskip(NEXT) | instid1(VALU_DEP_4)
	v_fmac_f32_e32 v5, 0x3e9e377a, v18
	v_fmac_f32_e32 v7, 0x3e9e377a, v10
	s_delay_alu instid0(VALU_DEP_4) | instskip(NEXT) | instid1(VALU_DEP_4)
	v_fmac_f32_e32 v35, 0x3e9e377a, v10
	v_fmac_f32_e32 v3, 0x3e9e377a, v18
	ds_store_2addr_b64 v9, v[1:2], v[35:36] offset1:48
	ds_store_2addr_b64 v9, v[3:4], v[5:6] offset0:96 offset1:144
	ds_store_b64 v9, v[7:8] offset:1536
.LBB0_34:
	s_wait_alu 0xfffe
	s_or_b32 exec_lo, exec_lo, s7
	v_mul_lo_u16 v1, v43, 13
	v_mul_lo_u16 v2, v42, 13
	v_mul_lo_u16 v3, 0x67, v46
	global_wb scope:SCOPE_SE
	s_wait_dscnt 0x0
	s_barrier_signal -1
	v_lshrrev_b16 v32, 8, v1
	v_mul_lo_u16 v1, 0x67, v41
	v_lshrrev_b16 v48, 8, v2
	v_lshrrev_b16 v50, 11, v3
	s_barrier_wait -1
	v_mul_lo_u16 v2, v32, 20
	v_lshrrev_b16 v49, 11, v1
	v_mul_lo_u16 v1, v48, 20
	global_inv scope:SCOPE_SE
	v_mul_u32_u24_e32 v51, 0x60, v41
	v_sub_nc_u16 v2, v43, v2
	v_mul_lo_u16 v3, v49, 20
	v_sub_nc_u16 v1, v42, v1
	s_delay_alu instid0(VALU_DEP_3) | instskip(SKIP_1) | instid1(VALU_DEP_4)
	v_and_b32_e32 v52, 0xff, v2
	v_mul_lo_u16 v2, v50, 20
	v_sub_nc_u16 v3, v41, v3
	s_delay_alu instid0(VALU_DEP_4) | instskip(NEXT) | instid1(VALU_DEP_4)
	v_and_b32_e32 v53, 0xff, v1
	v_lshlrev_b32_e32 v1, 4, v52
	s_delay_alu instid0(VALU_DEP_4)
	v_sub_nc_u16 v2, v46, v2
	global_load_b128 v[4:7], v1, s[8:9] offset:128
	v_and_b32_e32 v46, 0xff, v3
	v_lshlrev_b32_e32 v3, 4, v53
	global_load_b128 v[8:11], v3, s[8:9] offset:128
	v_and_b32_e32 v54, 0xff, v2
	v_lshlrev_b32_e32 v1, 4, v46
	v_add_nc_u32_e32 v3, 0x3480, v44
	v_add_nc_u32_e32 v28, 0x2580, v44
	s_delay_alu instid0(VALU_DEP_4)
	v_lshlrev_b32_e32 v2, 4, v54
	s_clause 0x1
	global_load_b128 v[12:15], v1, s[8:9] offset:128
	global_load_b128 v[16:19], v2, s[8:9] offset:128
	v_add_nc_u32_e32 v35, 0x4380, v44
	ds_load_2addr_stride64_b64 v[20:23], v44 offset1:15
	ds_load_b64 v[1:2], v45
	ds_load_b64 v[39:40], v44 offset:21120
	ds_load_2addr_b64 v[24:27], v3 offset1:240
	ds_load_2addr_b64 v[28:31], v28 offset1:240
	;; [unrolled: 1-line block ×3, first 2 shown]
	v_and_b32_e32 v56, 0xffff, v49
	v_and_b32_e32 v32, 0xffff, v32
	;; [unrolled: 1-line block ×3, first 2 shown]
	v_add3_u32 v3, 0, v51, v47
	s_wait_loadcnt_dscnt 0x100
	v_mul_f32_e32 v58, v38, v15
	v_mul_f32_e32 v15, v37, v15
	v_mad_u32_u24 v46, v56, 60, v46
	v_mul_f32_e32 v56, v11, v36
	v_and_b32_e32 v55, 0xffff, v48
	v_mul_f32_e32 v11, v11, v35
	v_mad_u32_u24 v32, v32, 60, v52
	v_mul_u32_u24_e32 v46, 0x60, v46
	v_fmac_f32_e32 v56, v10, v35
	v_mad_u32_u24 v52, v55, 60, v53
	v_mul_f32_e32 v55, v9, v29
	v_mad_u32_u24 v53, v57, 60, v54
	v_mul_u32_u24_e32 v32, 0x60, v32
	ds_load_2addr_b64 v[48:51], v3 offset1:240
	v_mul_u32_u24_e32 v52, 0x60, v52
	v_add3_u32 v46, 0, v46, v47
	v_mul_u32_u24_e32 v53, 0x60, v53
	v_add3_u32 v32, 0, v32, v47
	v_mul_f32_e32 v54, v7, v27
	v_add3_u32 v52, 0, v52, v47
	v_mul_f32_e32 v7, v7, v26
	;; [unrolled: 2-line block ×3, first 2 shown]
	v_mul_f32_e32 v5, v5, v22
	s_wait_loadcnt 0x0
	v_dual_mul_f32 v9, v9, v28 :: v_dual_mul_f32 v60, v40, v19
	v_dual_fmac_f32 v54, v6, v26 :: v_dual_fmac_f32 v55, v8, v28
	v_fmac_f32_e32 v53, v4, v22
	v_mul_f32_e32 v57, v31, v13
	s_delay_alu instid0(VALU_DEP_4)
	v_dual_mul_f32 v13, v30, v13 :: v_dual_fmac_f32 v60, v39, v18
	v_fma_f32 v4, v4, v23, -v5
	v_fma_f32 v5, v6, v27, -v7
	v_mul_f32_e32 v19, v39, v19
	v_fma_f32 v6, v8, v29, -v9
	v_fma_f32 v9, v10, v36, -v11
	;; [unrolled: 1-line block ×4, first 2 shown]
	v_mul_f32_e32 v59, v25, v17
	v_mul_f32_e32 v17, v24, v17
	v_dual_fmac_f32 v57, v30, v12 :: v_dual_fmac_f32 v58, v37, v14
	s_delay_alu instid0(VALU_DEP_4)
	v_add_f32_e32 v30, v7, v11
	v_add_f32_e32 v14, v4, v5
	v_fma_f32 v15, v40, v18, -v19
	v_sub_f32_e32 v18, v53, v54
	v_fma_f32 v8, v25, v16, -v17
	v_sub_f32_e32 v22, v6, v9
	v_dual_sub_f32 v28, v7, v11 :: v_dual_fmac_f32 v59, v24, v16
	v_add_f32_e32 v24, v6, v9
	v_add_f32_e32 v16, v1, v55
	;; [unrolled: 1-line block ×3, first 2 shown]
	v_dual_add_f32 v10, v20, v53 :: v_dual_add_f32 v19, v55, v56
	s_wait_dscnt 0x0
	v_dual_add_f32 v13, v21, v4 :: v_dual_add_f32 v26, v48, v57
	v_dual_add_f32 v27, v57, v58 :: v_dual_sub_f32 v40, v59, v60
	v_dual_sub_f32 v17, v4, v5 :: v_dual_add_f32 v36, v59, v60
	v_dual_add_f32 v23, v2, v6 :: v_dual_add_f32 v38, v51, v8
	v_add_f32_e32 v29, v49, v7
	v_fma_f32 v6, -0.5, v12, v20
	v_add_f32_e32 v35, v50, v59
	v_add_f32_e32 v39, v8, v15
	v_fma_f32 v7, -0.5, v14, v21
	v_sub_f32_e32 v25, v55, v56
	v_dual_sub_f32 v31, v57, v58 :: v_dual_fmac_f32 v2, -0.5, v24
	v_add_f32_e32 v4, v10, v54
	v_fma_f32 v1, -0.5, v19, v1
	v_add_f32_e32 v5, v13, v5
	v_fma_f32 v12, -0.5, v27, v48
	v_fma_f32 v13, -0.5, v30, v49
	v_sub_f32_e32 v37, v8, v15
	v_add_f32_e32 v8, v16, v56
	v_fma_f32 v50, -0.5, v36, v50
	v_fmamk_f32 v16, v17, 0xbf5db3d7, v6
	v_add_f32_e32 v14, v35, v60
	v_dual_fmac_f32 v6, 0x3f5db3d7, v17 :: v_dual_fmac_f32 v51, -0.5, v39
	v_fmamk_f32 v17, v18, 0x3f5db3d7, v7
	v_fmac_f32_e32 v7, 0xbf5db3d7, v18
	v_dual_add_f32 v9, v23, v9 :: v_dual_fmamk_f32 v20, v28, 0xbf5db3d7, v12
	v_add_f32_e32 v10, v26, v58
	v_fmamk_f32 v18, v22, 0xbf5db3d7, v1
	v_fmamk_f32 v19, v25, 0x3f5db3d7, v2
	v_dual_add_f32 v11, v29, v11 :: v_dual_fmac_f32 v2, 0xbf5db3d7, v25
	v_fmac_f32_e32 v1, 0x3f5db3d7, v22
	v_fmamk_f32 v21, v31, 0x3f5db3d7, v13
	global_wb scope:SCOPE_SE
	s_barrier_signal -1
	s_barrier_wait -1
	global_inv scope:SCOPE_SE
	v_dual_add_f32 v15, v38, v15 :: v_dual_fmac_f32 v12, 0x3f5db3d7, v28
	v_dual_fmac_f32 v13, 0xbf5db3d7, v31 :: v_dual_fmamk_f32 v22, v37, 0xbf5db3d7, v50
	v_dual_fmac_f32 v50, 0x3f5db3d7, v37 :: v_dual_fmamk_f32 v23, v40, 0x3f5db3d7, v51
	v_fmac_f32_e32 v51, 0xbf5db3d7, v40
	ds_store_2addr_b64 v32, v[4:5], v[16:17] offset1:240
	ds_store_b64 v32, v[6:7] offset:3840
	ds_store_2addr_b64 v52, v[8:9], v[18:19] offset1:240
	ds_store_b64 v52, v[1:2] offset:3840
	;; [unrolled: 2-line block ×4, first 2 shown]
	global_wb scope:SCOPE_SE
	s_wait_dscnt 0x0
	s_barrier_signal -1
	s_barrier_wait -1
	global_inv scope:SCOPE_SE
	s_and_saveexec_b32 s7, s5
	s_cbranch_execz .LBB0_36
; %bb.35:
	v_subrev_nc_u32_e32 v1, 40, v43
	v_cmp_gt_u32_e32 vcc_lo, 0x1e0, v0
	v_subrev_nc_u32_e32 v4, 60, v43
	v_mul_lo_u16 v6, 0x89, v41
	s_load_b64 s[0:1], s[0:1], 0x8
	v_cndmask_b32_e32 v20, v1, v42, vcc_lo
	v_cmp_gt_u32_e32 vcc_lo, 0x2d0, v0
	v_mov_b32_e32 v2, 0
	s_delay_alu instid0(VALU_DEP_3) | instskip(SKIP_2) | instid1(VALU_DEP_2)
	v_mul_i32_i24_e32 v1, 3, v20
	s_wait_alu 0xfffd
	v_cndmask_b32_e32 v32, v4, v43, vcc_lo
	v_lshlrev_b64_e32 v[4:5], 3, v[1:2]
	s_delay_alu instid0(VALU_DEP_2) | instskip(NEXT) | instid1(VALU_DEP_1)
	v_mul_i32_i24_e32 v1, 3, v32
	v_lshlrev_b64_e32 v[8:9], 3, v[1:2]
	v_lshrrev_b16 v1, 13, v6
	s_delay_alu instid0(VALU_DEP_4) | instskip(SKIP_2) | instid1(VALU_DEP_3)
	v_add_co_u32 v16, vcc_lo, s8, v4
	s_wait_alu 0xfffd
	v_add_co_ci_u32_e32 v17, vcc_lo, s9, v5, vcc_lo
	v_mul_lo_u16 v12, v1, 60
	v_add_co_u32 v18, vcc_lo, s8, v8
	s_wait_alu 0xfffd
	v_add_co_ci_u32_e32 v19, vcc_lo, s9, v9, vcc_lo
	s_delay_alu instid0(VALU_DEP_3)
	v_sub_nc_u16 v12, v41, v12
	global_load_b128 v[4:7], v[16:17], off offset:448
	v_cmp_lt_u32_e32 vcc_lo, 0x2cf, v0
	global_load_b128 v[8:11], v[18:19], off offset:448
	v_and_b32_e32 v21, 0xff, v12
	v_add_nc_u32_e32 v23, 0xb4, v20
	v_add_nc_u32_e32 v24, 0x78, v20
	;; [unrolled: 1-line block ×3, first 2 shown]
	v_mul_lo_u32 v20, v34, v20
	v_mul_u32_u24_e32 v12, 3, v21
	v_mul_lo_u32 v23, v34, v23
	v_mul_lo_u32 v27, v34, v24
	global_load_b64 v[24:25], v[18:19], off offset:464
	v_mul_lo_u32 v18, v34, v26
	v_lshlrev_b32_e32 v22, 3, v12
	v_and_b32_e32 v19, 0xff, v23
	v_lshrrev_b32_e32 v23, 5, v23
	v_and_b32_e32 v30, 0xff, v27
	v_lshrrev_b32_e32 v31, 5, v27
	v_and_b32_e32 v35, 0xff, v18
	v_lshlrev_b32_e32 v19, 3, v19
	v_and_b32_e32 v23, 0x7f8, v23
	v_lshrrev_b32_e32 v18, 5, v18
	global_load_b128 v[12:15], v22, s[8:9] offset:448
	s_wait_kmcnt 0x0
	s_clause 0x1
	global_load_b64 v[26:27], v19, s[0:1]
	global_load_b64 v[28:29], v23, s[0:1] offset:2048
	v_lshlrev_b32_e32 v19, 3, v30
	v_and_b32_e32 v23, 0x7f8, v31
	v_add_nc_u32_e32 v43, 0xb4, v32
	v_lshlrev_b32_e32 v37, 3, v35
	v_and_b32_e32 v18, 0x7f8, v18
	s_clause 0x1
	global_load_b64 v[30:31], v19, s[0:1]
	global_load_b64 v[35:36], v23, s[0:1] offset:2048
	v_and_b32_e32 v19, 0xff, v20
	v_lshrrev_b32_e32 v20, 5, v20
	s_clause 0x1
	global_load_b64 v[37:38], v37, s[0:1]
	global_load_b64 v[39:40], v18, s[0:1] offset:2048
	v_mul_lo_u32 v18, v34, v43
	v_mul_lo_u32 v23, v34, v32
	v_lshlrev_b32_e32 v19, 3, v19
	v_and_b32_e32 v20, 0x7f8, v20
	s_clause 0x1
	global_load_b64 v[46:47], v19, s[0:1]
	global_load_b64 v[48:49], v20, s[0:1] offset:2048
	v_and_b32_e32 v19, 0xff, v18
	v_lshrrev_b32_e32 v18, 5, v18
	s_delay_alu instid0(VALU_DEP_2) | instskip(NEXT) | instid1(VALU_DEP_2)
	v_lshlrev_b32_e32 v19, 3, v19
	v_and_b32_e32 v18, 0x7f8, v18
	s_clause 0x1
	global_load_b64 v[50:51], v19, s[0:1]
	global_load_b64 v[52:53], v18, s[0:1] offset:2048
	v_add_nc_u32_e32 v18, 0x78, v32
	v_add_nc_u32_e32 v19, 60, v32
	s_delay_alu instid0(VALU_DEP_2) | instskip(NEXT) | instid1(VALU_DEP_2)
	v_mul_lo_u32 v18, v34, v18
	v_mul_lo_u32 v19, v34, v19
	s_delay_alu instid0(VALU_DEP_2) | instskip(SKIP_1) | instid1(VALU_DEP_2)
	v_and_b32_e32 v20, 0xff, v18
	v_lshrrev_b32_e32 v18, 5, v18
	v_lshlrev_b32_e32 v20, 3, v20
	s_delay_alu instid0(VALU_DEP_2)
	v_and_b32_e32 v18, 0x7f8, v18
	s_clause 0x1
	global_load_b64 v[54:55], v20, s[0:1]
	global_load_b64 v[56:57], v18, s[0:1] offset:2048
	v_and_b32_e32 v18, 0xff, v19
	v_lshrrev_b32_e32 v19, 5, v19
	global_load_b64 v[58:59], v[16:17], off offset:464
	v_and_b32_e32 v16, 0xff, v23
	v_lshrrev_b32_e32 v17, 5, v23
	v_lshlrev_b32_e32 v18, 3, v18
	v_and_b32_e32 v19, 0x7f8, v19
	s_delay_alu instid0(VALU_DEP_4) | instskip(NEXT) | instid1(VALU_DEP_4)
	v_lshlrev_b32_e32 v16, 3, v16
	v_and_b32_e32 v17, 0x7f8, v17
	s_clause 0x3
	global_load_b64 v[60:61], v18, s[0:1]
	global_load_b64 v[62:63], v19, s[0:1] offset:2048
	global_load_b64 v[64:65], v16, s[0:1]
	global_load_b64 v[66:67], v17, s[0:1] offset:2048
	global_load_b64 v[68:69], v22, s[8:9] offset:464
	v_add_nc_u32_e32 v16, 0xb4, v21
	v_add_nc_u32_e32 v17, 0x78, v21
	;; [unrolled: 1-line block ×3, first 2 shown]
	v_mul_lo_u32 v18, v34, v21
	s_delay_alu instid0(VALU_DEP_4) | instskip(NEXT) | instid1(VALU_DEP_4)
	v_mul_lo_u32 v16, v34, v16
	v_mul_lo_u32 v17, v34, v17
	s_delay_alu instid0(VALU_DEP_4)
	v_mul_lo_u32 v19, v34, v19
	v_add_nc_u32_e32 v34, 0x780, v3
	v_and_b32_e32 v20, 0xff, v18
	v_lshrrev_b32_e32 v18, 5, v18
	v_and_b32_e32 v21, 0xff, v16
	v_lshrrev_b32_e32 v16, 5, v16
	;; [unrolled: 2-line block ×4, first 2 shown]
	v_lshlrev_b32_e32 v21, 3, v21
	v_and_b32_e32 v16, 0x7f8, v16
	v_lshlrev_b32_e32 v22, 3, v22
	v_and_b32_e32 v17, 0x7f8, v17
	v_lshlrev_b32_e32 v23, 3, v23
	v_lshlrev_b32_e32 v20, 3, v20
	v_and_b32_e32 v18, 0x7f8, v18
	v_and_b32_e32 v19, 0x7f8, v19
	s_clause 0x7
	global_load_b64 v[70:71], v21, s[0:1]
	global_load_b64 v[72:73], v16, s[0:1] offset:2048
	global_load_b64 v[74:75], v22, s[0:1]
	global_load_b64 v[76:77], v17, s[0:1] offset:2048
	;; [unrolled: 2-line block ×4, first 2 shown]
	v_add_nc_u32_e32 v16, 0x2d00, v44
	v_add_nc_u32_e32 v20, 0x1e00, v44
	ds_load_2addr_b64 v[16:19], v16 offset1:240
	ds_load_2addr_b64 v[20:23], v20 offset1:240
	ds_load_b64 v[86:87], v34
	s_wait_loadcnt_dscnt 0x1d01
	v_dual_mul_f32 v43, v7, v18 :: v_dual_mul_f32 v88, v5, v21
	v_mul_f32_e32 v5, v5, v20
	v_mul_f32_e32 v89, v7, v19
	s_wait_loadcnt 0x1c
	v_mul_f32_e32 v90, v11, v17
	v_fma_f32 v34, v6, v19, -v43
	v_fmac_f32_e32 v88, v4, v20
	v_fma_f32 v43, v4, v21, -v5
	v_mul_f32_e32 v4, v11, v16
	v_add_nc_u32_e32 v5, 0x3c00, v44
	v_fmac_f32_e32 v89, v6, v18
	v_fmac_f32_e32 v90, v10, v16
	s_wait_dscnt 0x0
	v_mul_f32_e32 v92, v9, v87
	v_fma_f32 v91, v10, v17, -v4
	ds_load_2addr_b64 v[4:7], v5 offset1:240
	v_mul_f32_e32 v9, v9, v86
	v_fmac_f32_e32 v92, v8, v86
	s_delay_alu instid0(VALU_DEP_2)
	v_fma_f32 v86, v8, v87, -v9
	ds_load_b64 v[8:9], v3
	ds_load_b32 v93, v3
	ds_load_b32 v96, v45
	s_wait_loadcnt 0x1a
	v_mul_f32_e32 v87, v23, v13
	v_mul_f32_e32 v10, v22, v13
	s_wait_loadcnt 0x18
	v_mul_f32_e32 v16, v27, v29
	v_mul_f32_e32 v29, v26, v29
	v_fmac_f32_e32 v87, v22, v12
	v_fma_f32 v94, v23, v12, -v10
	s_wait_dscnt 0x3
	v_mul_f32_e32 v11, v4, v15
	v_mul_f32_e32 v95, v5, v15
	s_wait_alu 0xfffd
	v_cndmask_b32_e64 v15, 0, 0xf0, vcc_lo
	v_cmp_lt_u32_e32 vcc_lo, 0x1df, v0
	v_dual_fmac_f32 v29, v27, v28 :: v_dual_add_nc_u32 v0, s6, v33
	s_wait_loadcnt 0x14
	s_delay_alu instid0(VALU_DEP_3)
	v_dual_mul_f32 v21, v38, v40 :: v_dual_add_nc_u32 v18, v32, v15
	v_fma_f32 v32, v26, v28, -v16
	v_mul_f32_e32 v16, v31, v36
	v_mul_f32_e32 v28, v30, v36
	s_wait_loadcnt 0x12
	v_mul_f32_e32 v36, v46, v49
	v_add_nc_u32_e32 v26, 0xb4, v18
	v_fma_f32 v97, v5, v14, -v11
	v_fma_f32 v30, v30, v35, -v16
	v_fmac_f32_e32 v95, v4, v14
	v_mul_f32_e32 v4, v25, v6
	v_mad_co_u64_u32 v[26:27], null, s4, v26, v[0:1]
	v_mov_b32_e32 v27, v2
	v_mad_co_u64_u32 v[16:17], null, s4, v18, v[0:1]
	v_mul_f32_e32 v17, v47, v49
	v_dual_fmac_f32 v28, v31, v35 :: v_dual_mul_f32 v31, v37, v40
	v_fma_f32 v35, v37, v39, -v21
	v_fmac_f32_e32 v36, v47, v48
	s_delay_alu instid0(VALU_DEP_4)
	v_fma_f32 v37, v46, v48, -v17
	s_wait_alu 0xfffd
	v_cndmask_b32_e64 v14, 0, 0xb4, vcc_lo
	v_fmac_f32_e32 v31, v38, v39
	s_wait_loadcnt 0x10
	v_mul_f32_e32 v38, v50, v53
	v_mov_b32_e32 v17, v2
	v_lshlrev_b64_e32 v[26:27], 3, v[26:27]
	s_delay_alu instid0(VALU_DEP_3) | instskip(NEXT) | instid1(VALU_DEP_3)
	v_dual_fmac_f32 v38, v51, v52 :: v_dual_add_nc_u32 v33, v42, v14
	v_lshlrev_b64_e32 v[16:17], 3, v[16:17]
	s_delay_alu instid0(VALU_DEP_2) | instskip(SKIP_3) | instid1(VALU_DEP_2)
	v_mad_co_u64_u32 v[14:15], null, s4, v33, v[0:1]
	s_wait_loadcnt 0xe
	v_dual_mov_b32 v15, v2 :: v_dual_mul_f32 v40, v55, v57
	v_mul_f32_e32 v42, v54, v57
	v_lshlrev_b64_e32 v[14:15], 3, v[14:15]
	s_delay_alu instid0(VALU_DEP_2) | instskip(NEXT) | instid1(VALU_DEP_2)
	v_fmac_f32_e32 v42, v55, v56
	v_add_co_u32 v14, vcc_lo, s2, v14
	s_wait_loadcnt 0xb
	v_dual_mul_f32 v48, v60, v63 :: v_dual_add_nc_u32 v3, 0x4b00, v44
	ds_load_b64 v[10:11], v44
	ds_load_b64 v[12:13], v45
	ds_load_b32 v44, v44
	v_mul_f32_e32 v45, v25, v7
	v_fma_f32 v7, v24, v7, -v4
	v_dual_fmac_f32 v48, v61, v62 :: v_dual_add_nc_u32 v19, 60, v33
	v_mul_f32_e32 v25, v51, v53
	s_delay_alu instid0(VALU_DEP_4)
	v_fmac_f32_e32 v45, v24, v6
	ds_load_2addr_b64 v[3:6], v3 offset1:240
	v_add_nc_u32_e32 v20, 0x78, v33
	v_add_nc_u32_e32 v46, 0xb4, v33
	v_fma_f32 v33, v54, v56, -v40
	v_fma_f32 v39, v50, v52, -v25
	v_sub_f32_e32 v7, v86, v7
	s_wait_alu 0xfffd
	v_add_co_ci_u32_e32 v15, vcc_lo, s3, v15, vcc_lo
	v_add_co_u32 v16, vcc_lo, s2, v16
	s_wait_alu 0xfffd
	v_add_co_ci_u32_e32 v17, vcc_lo, s3, v17, vcc_lo
	s_wait_dscnt 0x2
	v_sub_f32_e32 v34, v13, v34
	v_sub_f32_e32 v12, v12, v89
	s_wait_loadcnt 0x9
	v_mul_f32_e32 v49, v64, v67
	v_dual_sub_f32 v52, v11, v91 :: v_dual_sub_f32 v45, v92, v45
	v_fma_f32 v13, v13, 2.0, -v34
	v_sub_f32_e32 v10, v10, v90
	s_wait_dscnt 0x0
	v_dual_fmac_f32 v49, v66, v65 :: v_dual_mul_f32 v40, v4, v59
	v_mul_f32_e32 v47, v3, v59
	v_mad_co_u64_u32 v[20:21], null, s4, v20, v[0:1]
	s_delay_alu instid0(VALU_DEP_3) | instskip(SKIP_1) | instid1(VALU_DEP_4)
	v_dual_mov_b32 v21, v2 :: v_dual_fmac_f32 v40, v3, v58
	v_mul_f32_e32 v3, v61, v63
	v_fma_f32 v4, v4, v58, -v47
	s_wait_loadcnt 0x8
	v_mul_f32_e32 v51, v5, v69
	v_dual_mul_f32 v47, v65, v67 :: v_dual_sub_f32 v40, v88, v40
	v_fma_f32 v50, v60, v62, -v3
	v_dual_sub_f32 v4, v43, v4 :: v_dual_mul_f32 v3, v6, v69
	v_add_nc_u32_e32 v24, 0x78, v18
	v_add_nc_u32_e32 v22, 60, v18
	v_mad_co_u64_u32 v[18:19], null, s4, v19, v[0:1]
	s_delay_alu instid0(VALU_DEP_4)
	v_fmac_f32_e32 v3, v5, v68
	v_fma_f32 v5, v6, v68, -v51
	v_sub_f32_e32 v6, v34, v40
	v_add_f32_e32 v51, v12, v4
	v_fma_f32 v4, v43, 2.0, -v4
	v_fma_f32 v43, v96, 2.0, -v12
	;; [unrolled: 1-line block ×3, first 2 shown]
	v_dual_sub_f32 v53, v9, v97 :: v_dual_sub_f32 v54, v87, v3
	v_dual_sub_f32 v8, v8, v95 :: v_dual_sub_f32 v5, v94, v5
	s_delay_alu instid0(VALU_DEP_3)
	v_dual_mul_f32 v3, v6, v29 :: v_dual_sub_f32 v40, v43, v40
	v_mul_f32_e32 v55, v51, v29
	v_dual_sub_f32 v29, v13, v4 :: v_dual_sub_f32 v56, v52, v45
	v_fma_f32 v34, v34, 2.0, -v6
	v_fma_f32 v12, v12, 2.0, -v51
	v_dual_add_f32 v57, v10, v7 :: v_dual_add_f32 v68, v8, v5
	v_fma_f32 v58, v11, 2.0, -v52
	v_fma_f32 v11, v86, 2.0, -v7
	;; [unrolled: 1-line block ×4, first 2 shown]
	v_mov_b32_e32 v19, v2
	v_mad_co_u64_u32 v[22:23], null, s4, v22, v[0:1]
	v_mad_co_u64_u32 v[24:25], null, s4, v24, v[0:1]
	v_mov_b32_e32 v23, v2
	v_fma_f32 v47, v64, v66, -v47
	s_wait_loadcnt 0x6
	v_mul_f32_e32 v59, v71, v73
	v_dual_mul_f32 v60, v70, v73 :: v_dual_sub_f32 v67, v53, v54
	s_wait_loadcnt 0x4
	v_mul_f32_e32 v61, v75, v77
	v_dual_mul_f32 v62, v74, v77 :: v_dual_fmac_f32 v3, v51, v32
	s_wait_loadcnt 0x2
	v_mul_f32_e32 v63, v79, v81
	v_mul_f32_e32 v64, v78, v81
	s_wait_loadcnt 0x0
	v_mul_f32_e32 v66, v82, v85
	v_fma_f32 v69, v9, 2.0, -v53
	v_mul_f32_e32 v9, v56, v38
	v_fma_f32 v73, v94, 2.0, -v5
	v_fma_f32 v4, v6, v32, -v55
	v_mul_f32_e32 v6, v40, v28
	v_dual_mul_f32 v5, v29, v28 :: v_dual_mul_f32 v28, v12, v31
	v_dual_mul_f32 v7, v34, v31 :: v_dual_fmac_f32 v60, v71, v72
	v_fma_f32 v31, v43, 2.0, -v40
	v_mul_f32_e32 v32, v57, v38
	v_dual_sub_f32 v38, v58, v11 :: v_dual_sub_f32 v43, v44, v45
	v_fmac_f32_e32 v62, v75, v76
	v_lshlrev_b64_e32 v[18:19], 3, v[18:19]
	v_mov_b32_e32 v25, v2
	v_lshlrev_b64_e32 v[22:23], 3, v[22:23]
	v_fma_f32 v77, v93, 2.0, -v8
	v_fma_f32 v54, v87, 2.0, -v54
	v_mul_f32_e32 v65, v83, v85
	v_fma_f32 v13, v13, 2.0, -v29
	v_fma_f32 v45, v52, 2.0, -v56
	;; [unrolled: 1-line block ×3, first 2 shown]
	v_sub_f32_e32 v54, v77, v54
	v_dual_fmac_f32 v66, v83, v84 :: v_dual_fmac_f32 v5, v40, v30
	v_fma_f32 v6, v29, v30, -v6
	v_dual_fmac_f32 v7, v12, v35 :: v_dual_mul_f32 v12, v31, v36
	v_fma_f32 v10, v56, v39, -v32
	v_fmac_f32_e32 v9, v57, v39
	v_dual_mul_f32 v29, v43, v42 :: v_dual_mul_f32 v30, v45, v48
	v_fma_f32 v39, v58, 2.0, -v38
	v_fma_f32 v40, v44, 2.0, -v43
	v_lshlrev_b64_e32 v[24:25], 3, v[24:25]
	v_add_co_u32 v18, vcc_lo, s2, v18
	s_wait_alu 0xfffd
	v_add_co_ci_u32_e32 v19, vcc_lo, s3, v19, vcc_lo
	v_add_co_u32 v22, vcc_lo, s2, v22
	v_fma_f32 v55, v74, v76, -v61
	v_fma_f32 v61, v82, v84, -v65
	v_fma_f32 v65, v8, 2.0, -v68
	v_fma_f32 v8, v34, v35, -v28
	v_dual_mul_f32 v11, v13, v36 :: v_dual_mul_f32 v28, v38, v42
	v_mul_f32_e32 v32, v67, v60
	v_fma_f32 v12, v13, v37, -v12
	v_mul_f32_e32 v13, v40, v49
	v_fma_f32 v29, v38, v33, -v29
	v_mul_f32_e32 v38, v39, v49
	v_fmac_f32_e32 v64, v79, v80
	v_dual_mul_f32 v35, v51, v48 :: v_dual_mul_f32 v44, v54, v62
	s_wait_alu 0xfffd
	v_add_co_ci_u32_e32 v23, vcc_lo, s3, v23, vcc_lo
	v_add_co_u32 v24, vcc_lo, s2, v24
	s_wait_alu 0xfffd
	v_add_co_ci_u32_e32 v25, vcc_lo, s3, v25, vcc_lo
	v_fma_f32 v52, v70, v72, -v59
	v_fma_f32 v59, v78, v80, -v63
	v_sub_f32_e32 v63, v69, v73
	v_fma_f32 v57, v77, 2.0, -v54
	v_fma_f32 v39, v39, v47, -v13
	v_fmac_f32_e32 v38, v40, v47
	v_add_co_u32 v26, vcc_lo, s2, v26
	v_dual_mul_f32 v48, v65, v64 :: v_dual_fmac_f32 v11, v31, v37
	v_fma_f32 v31, v45, v50, -v35
	v_fmac_f32_e32 v30, v51, v50
	v_dual_fmac_f32 v28, v43, v33 :: v_dual_mul_f32 v43, v57, v66
	s_wait_alu 0xfffd
	v_add_co_ci_u32_e32 v27, vcc_lo, s3, v27, vcc_lo
	v_lshlrev_b64_e32 v[20:21], 3, v[20:21]
	v_mul_f32_e32 v42, v68, v60
	v_mul_f32_e32 v34, v63, v62
	s_clause 0x3
	global_store_b64 v[16:17], v[38:39], off
	global_store_b64 v[22:23], v[30:31], off
	;; [unrolled: 1-line block ×4, first 2 shown]
	v_mad_co_u64_u32 v[9:10], null, s4, v46, v[0:1]
	v_and_b32_e32 v1, 0xffff, v1
	v_fma_f32 v53, v53, 2.0, -v67
	v_add_co_u32 v16, vcc_lo, s2, v20
	v_mov_b32_e32 v10, v2
	s_delay_alu instid0(VALU_DEP_4)
	v_mad_u32_u24 v1, 0xb4, v1, v41
	s_wait_alu 0xfffd
	v_add_co_ci_u32_e32 v17, vcc_lo, s3, v21, vcc_lo
	v_mul_f32_e32 v36, v53, v64
	s_clause 0x2
	global_store_b64 v[14:15], v[11:12], off
	global_store_b64 v[18:19], v[7:8], off
	global_store_b64 v[16:17], v[5:6], off
	v_lshlrev_b64_e32 v[5:6], 3, v[9:10]
	v_add_nc_u32_e32 v9, 60, v1
	v_mad_co_u64_u32 v[7:8], null, s4, v1, v[0:1]
	v_dual_fmac_f32 v32, v68, v52 :: v_dual_add_nc_u32 v11, 0x78, v1
	s_delay_alu instid0(VALU_DEP_3) | instskip(SKIP_3) | instid1(VALU_DEP_3)
	v_mad_co_u64_u32 v[9:10], null, s4, v9, v[0:1]
	v_dual_mov_b32 v8, v2 :: v_dual_add_nc_u32 v1, 0xb4, v1
	v_mov_b32_e32 v10, v2
	v_add_co_u32 v5, vcc_lo, s2, v5
	v_mad_co_u64_u32 v[11:12], null, s4, v11, v[0:1]
	s_delay_alu instid0(VALU_DEP_4)
	v_lshlrev_b64_e32 v[7:8], 3, v[7:8]
	v_mov_b32_e32 v12, v2
	v_mad_co_u64_u32 v[0:1], null, s4, v1, v[0:1]
	v_lshlrev_b64_e32 v[9:10], 3, v[9:10]
	v_fma_f32 v56, v69, 2.0, -v63
	v_mov_b32_e32 v1, v2
	s_wait_alu 0xfffd
	v_add_co_ci_u32_e32 v6, vcc_lo, s3, v6, vcc_lo
	v_add_co_u32 v7, vcc_lo, s2, v7
	v_lshlrev_b64_e32 v[11:12], 3, v[11:12]
	s_wait_alu 0xfffd
	v_add_co_ci_u32_e32 v8, vcc_lo, s3, v8, vcc_lo
	v_fma_f32 v33, v67, v52, -v42
	v_mul_f32_e32 v42, v56, v66
	v_add_co_u32 v9, vcc_lo, s2, v9
	v_lshlrev_b64_e32 v[0:1], 3, v[0:1]
	s_wait_alu 0xfffd
	v_add_co_ci_u32_e32 v10, vcc_lo, s3, v10, vcc_lo
	v_add_co_u32 v11, vcc_lo, s2, v11
	v_fma_f32 v43, v56, v61, -v43
	v_fmac_f32_e32 v42, v57, v61
	s_wait_alu 0xfffd
	v_add_co_ci_u32_e32 v12, vcc_lo, s3, v12, vcc_lo
	v_fma_f32 v37, v53, v59, -v48
	v_fmac_f32_e32 v36, v65, v59
	v_add_co_u32 v0, vcc_lo, s2, v0
	v_fma_f32 v35, v63, v55, -v44
	v_fmac_f32_e32 v34, v54, v55
	s_wait_alu 0xfffd
	v_add_co_ci_u32_e32 v1, vcc_lo, s3, v1, vcc_lo
	s_clause 0x4
	global_store_b64 v[5:6], v[3:4], off
	global_store_b64 v[7:8], v[42:43], off
	;; [unrolled: 1-line block ×5, first 2 shown]
.LBB0_36:
	s_nop 0
	s_sendmsg sendmsg(MSG_DEALLOC_VGPRS)
	s_endpgm
	.section	.rodata,"a",@progbits
	.p2align	6, 0x0
	.amdhsa_kernel fft_rtc_back_len240_factors_4_5_3_4_wgs_240_tpt_20_dim3_sp_ip_CI_sbcc_twdbase8_2step_dirReg_intrinsicReadWrite
		.amdhsa_group_segment_fixed_size 0
		.amdhsa_private_segment_fixed_size 0
		.amdhsa_kernarg_size 88
		.amdhsa_user_sgpr_count 2
		.amdhsa_user_sgpr_dispatch_ptr 0
		.amdhsa_user_sgpr_queue_ptr 0
		.amdhsa_user_sgpr_kernarg_segment_ptr 1
		.amdhsa_user_sgpr_dispatch_id 0
		.amdhsa_user_sgpr_private_segment_size 0
		.amdhsa_wavefront_size32 1
		.amdhsa_uses_dynamic_stack 0
		.amdhsa_enable_private_segment 0
		.amdhsa_system_sgpr_workgroup_id_x 1
		.amdhsa_system_sgpr_workgroup_id_y 0
		.amdhsa_system_sgpr_workgroup_id_z 0
		.amdhsa_system_sgpr_workgroup_info 0
		.amdhsa_system_vgpr_workitem_id 0
		.amdhsa_next_free_vgpr 98
		.amdhsa_next_free_sgpr 26
		.amdhsa_reserve_vcc 1
		.amdhsa_float_round_mode_32 0
		.amdhsa_float_round_mode_16_64 0
		.amdhsa_float_denorm_mode_32 3
		.amdhsa_float_denorm_mode_16_64 3
		.amdhsa_fp16_overflow 0
		.amdhsa_workgroup_processor_mode 1
		.amdhsa_memory_ordered 1
		.amdhsa_forward_progress 0
		.amdhsa_round_robin_scheduling 0
		.amdhsa_exception_fp_ieee_invalid_op 0
		.amdhsa_exception_fp_denorm_src 0
		.amdhsa_exception_fp_ieee_div_zero 0
		.amdhsa_exception_fp_ieee_overflow 0
		.amdhsa_exception_fp_ieee_underflow 0
		.amdhsa_exception_fp_ieee_inexact 0
		.amdhsa_exception_int_div_zero 0
	.end_amdhsa_kernel
	.text
.Lfunc_end0:
	.size	fft_rtc_back_len240_factors_4_5_3_4_wgs_240_tpt_20_dim3_sp_ip_CI_sbcc_twdbase8_2step_dirReg_intrinsicReadWrite, .Lfunc_end0-fft_rtc_back_len240_factors_4_5_3_4_wgs_240_tpt_20_dim3_sp_ip_CI_sbcc_twdbase8_2step_dirReg_intrinsicReadWrite
                                        ; -- End function
	.section	.AMDGPU.csdata,"",@progbits
; Kernel info:
; codeLenInByte = 8380
; NumSgprs: 28
; NumVgprs: 98
; ScratchSize: 0
; MemoryBound: 0
; FloatMode: 240
; IeeeMode: 1
; LDSByteSize: 0 bytes/workgroup (compile time only)
; SGPRBlocks: 3
; VGPRBlocks: 12
; NumSGPRsForWavesPerEU: 28
; NumVGPRsForWavesPerEU: 98
; Occupancy: 12
; WaveLimiterHint : 1
; COMPUTE_PGM_RSRC2:SCRATCH_EN: 0
; COMPUTE_PGM_RSRC2:USER_SGPR: 2
; COMPUTE_PGM_RSRC2:TRAP_HANDLER: 0
; COMPUTE_PGM_RSRC2:TGID_X_EN: 1
; COMPUTE_PGM_RSRC2:TGID_Y_EN: 0
; COMPUTE_PGM_RSRC2:TGID_Z_EN: 0
; COMPUTE_PGM_RSRC2:TIDIG_COMP_CNT: 0
	.text
	.p2alignl 7, 3214868480
	.fill 96, 4, 3214868480
	.type	__hip_cuid_ff3b973903f6e744,@object ; @__hip_cuid_ff3b973903f6e744
	.section	.bss,"aw",@nobits
	.globl	__hip_cuid_ff3b973903f6e744
__hip_cuid_ff3b973903f6e744:
	.byte	0                               ; 0x0
	.size	__hip_cuid_ff3b973903f6e744, 1

	.ident	"AMD clang version 19.0.0git (https://github.com/RadeonOpenCompute/llvm-project roc-6.4.0 25133 c7fe45cf4b819c5991fe208aaa96edf142730f1d)"
	.section	".note.GNU-stack","",@progbits
	.addrsig
	.addrsig_sym __hip_cuid_ff3b973903f6e744
	.amdgpu_metadata
---
amdhsa.kernels:
  - .args:
      - .actual_access:  read_only
        .address_space:  global
        .offset:         0
        .size:           8
        .value_kind:     global_buffer
      - .address_space:  global
        .offset:         8
        .size:           8
        .value_kind:     global_buffer
      - .actual_access:  read_only
        .address_space:  global
        .offset:         16
        .size:           8
        .value_kind:     global_buffer
      - .actual_access:  read_only
        .address_space:  global
        .offset:         24
        .size:           8
        .value_kind:     global_buffer
      - .offset:         32
        .size:           8
        .value_kind:     by_value
      - .actual_access:  read_only
        .address_space:  global
        .offset:         40
        .size:           8
        .value_kind:     global_buffer
      - .actual_access:  read_only
        .address_space:  global
        .offset:         48
        .size:           8
        .value_kind:     global_buffer
      - .offset:         56
        .size:           4
        .value_kind:     by_value
      - .actual_access:  read_only
        .address_space:  global
        .offset:         64
        .size:           8
        .value_kind:     global_buffer
      - .actual_access:  read_only
        .address_space:  global
        .offset:         72
        .size:           8
        .value_kind:     global_buffer
      - .address_space:  global
        .offset:         80
        .size:           8
        .value_kind:     global_buffer
    .group_segment_fixed_size: 0
    .kernarg_segment_align: 8
    .kernarg_segment_size: 88
    .language:       OpenCL C
    .language_version:
      - 2
      - 0
    .max_flat_workgroup_size: 240
    .name:           fft_rtc_back_len240_factors_4_5_3_4_wgs_240_tpt_20_dim3_sp_ip_CI_sbcc_twdbase8_2step_dirReg_intrinsicReadWrite
    .private_segment_fixed_size: 0
    .sgpr_count:     28
    .sgpr_spill_count: 0
    .symbol:         fft_rtc_back_len240_factors_4_5_3_4_wgs_240_tpt_20_dim3_sp_ip_CI_sbcc_twdbase8_2step_dirReg_intrinsicReadWrite.kd
    .uniform_work_group_size: 1
    .uses_dynamic_stack: false
    .vgpr_count:     98
    .vgpr_spill_count: 0
    .wavefront_size: 32
    .workgroup_processor_mode: 1
amdhsa.target:   amdgcn-amd-amdhsa--gfx1201
amdhsa.version:
  - 1
  - 2
...

	.end_amdgpu_metadata
